;; amdgpu-corpus repo=ROCm/rocFFT kind=compiled arch=gfx906 opt=O3
	.text
	.amdgcn_target "amdgcn-amd-amdhsa--gfx906"
	.amdhsa_code_object_version 6
	.protected	fft_rtc_fwd_len52_factors_13_4_wgs_208_tpt_13_sp_op_CI_CI_sbcc_twdbase8_3step ; -- Begin function fft_rtc_fwd_len52_factors_13_4_wgs_208_tpt_13_sp_op_CI_CI_sbcc_twdbase8_3step
	.globl	fft_rtc_fwd_len52_factors_13_4_wgs_208_tpt_13_sp_op_CI_CI_sbcc_twdbase8_3step
	.p2align	8
	.type	fft_rtc_fwd_len52_factors_13_4_wgs_208_tpt_13_sp_op_CI_CI_sbcc_twdbase8_3step,@function
fft_rtc_fwd_len52_factors_13_4_wgs_208_tpt_13_sp_op_CI_CI_sbcc_twdbase8_3step: ; @fft_rtc_fwd_len52_factors_13_4_wgs_208_tpt_13_sp_op_CI_CI_sbcc_twdbase8_3step
; %bb.0:
	s_load_dwordx4 s[0:3], s[4:5], 0x18
	s_load_dwordx2 s[30:31], s[4:5], 0x28
	s_mov_b32 s7, 0
	s_mov_b64 s[24:25], 0
	s_waitcnt lgkmcnt(0)
	s_load_dwordx2 s[28:29], s[0:1], 0x8
	s_waitcnt lgkmcnt(0)
	s_add_u32 s8, s28, -1
	s_addc_u32 s9, s29, -1
	s_lshr_b64 s[8:9], s[8:9], 4
	s_add_u32 s34, s8, 1
	s_addc_u32 s35, s9, 0
	v_mov_b32_e32 v1, s34
	v_mov_b32_e32 v2, s35
	v_cmp_lt_u64_e32 vcc, s[6:7], v[1:2]
	s_cbranch_vccnz .LBB0_2
; %bb.1:
	v_cvt_f32_u32_e32 v1, s34
	s_sub_i32 s8, 0, s34
	s_mov_b32 s25, s7
	v_rcp_iflag_f32_e32 v1, v1
	v_mul_f32_e32 v1, 0x4f7ffffe, v1
	v_cvt_u32_f32_e32 v1, v1
	v_readfirstlane_b32 s9, v1
	s_mul_i32 s8, s8, s9
	s_mul_hi_u32 s8, s9, s8
	s_add_i32 s9, s9, s8
	s_mul_hi_u32 s8, s6, s9
	s_mul_i32 s10, s8, s34
	s_sub_i32 s10, s6, s10
	s_add_i32 s9, s8, 1
	s_sub_i32 s11, s10, s34
	s_cmp_ge_u32 s10, s34
	s_cselect_b32 s8, s9, s8
	s_cselect_b32 s10, s11, s10
	s_add_i32 s9, s8, 1
	s_cmp_ge_u32 s10, s34
	s_cselect_b32 s24, s9, s8
.LBB0_2:
	s_mul_i32 s16, s24, s35
	s_mul_hi_u32 s17, s24, s34
	s_load_dwordx4 s[12:15], s[4:5], 0x60
	s_load_dwordx4 s[20:23], s[2:3], 0x0
	;; [unrolled: 1-line block ×3, first 2 shown]
	s_add_i32 s17, s17, s16
	s_mul_i32 s16, s24, s34
	s_sub_u32 s36, s6, s16
	s_subb_u32 s37, 0, s17
	v_mov_b32_e32 v1, s36
	v_alignbit_b32 v1, s37, v1, 28
	s_waitcnt lgkmcnt(0)
	v_mul_lo_u32 v2, s22, v1
	s_load_dwordx2 s[26:27], s[4:5], 0x0
	s_load_dwordx4 s[16:19], s[4:5], 0x8
	s_lshl_b64 s[4:5], s[36:37], 4
	s_mul_hi_u32 s33, s22, s4
	v_mul_lo_u32 v3, s10, v1
	v_add_u32_e32 v2, s33, v2
	s_mul_i32 s33, s23, s4
	v_add_u32_e32 v2, s33, v2
	s_mul_i32 s33, s22, s4
	v_mov_b32_e32 v1, s33
	s_mul_hi_u32 s33, s10, s4
	v_add_u32_e32 v3, s33, v3
	s_mul_i32 s33, s11, s4
	s_waitcnt lgkmcnt(0)
	v_cmp_lt_u64_e64 s[36:37], s[18:19], 3
	v_add_u32_e32 v25, s33, v3
	s_mul_i32 s33, s10, s4
	v_mov_b32_e32 v24, s33
	s_and_b64 vcc, exec, s[36:37]
	s_cbranch_vccnz .LBB0_11
; %bb.3:
	s_add_u32 s36, s30, 16
	s_addc_u32 s37, s31, 0
	s_add_u32 s38, s2, 16
	s_addc_u32 s39, s3, 0
	s_add_u32 s40, s0, 16
	v_mov_b32_e32 v3, s18
	s_addc_u32 s41, s1, 0
	s_mov_b64 s[42:43], 2
	s_mov_b32 s44, 0
	v_mov_b32_e32 v4, s19
	s_branch .LBB0_5
.LBB0_4:                                ;   in Loop: Header=BB0_5 Depth=1
	s_mul_i32 s33, s46, s35
	s_mul_hi_u32 s35, s46, s34
	s_add_i32 s33, s35, s33
	s_mul_i32 s35, s47, s34
	s_add_i32 s35, s33, s35
	s_mul_i32 s33, s0, s47
	s_mul_hi_u32 s45, s0, s46
	s_load_dwordx2 s[48:49], s[38:39], 0x0
	s_add_i32 s33, s45, s33
	s_mul_i32 s45, s1, s46
	s_add_i32 s33, s33, s45
	s_mul_i32 s45, s0, s46
	s_sub_u32 s45, s24, s45
	s_subb_u32 s33, s25, s33
	s_waitcnt lgkmcnt(0)
	s_mul_i32 s24, s48, s33
	s_mul_hi_u32 s25, s48, s45
	s_add_i32 s24, s25, s24
	s_mul_i32 s25, s49, s45
	s_add_i32 s24, s24, s25
	v_mov_b32_e32 v5, s24
	s_load_dwordx2 s[24:25], s[36:37], 0x0
	s_mul_i32 s34, s46, s34
	s_mul_i32 s46, s48, s45
	v_add_co_u32_e32 v1, vcc, s46, v1
	s_waitcnt lgkmcnt(0)
	s_mul_i32 s33, s24, s33
	s_mul_hi_u32 s46, s24, s45
	s_add_i32 s33, s46, s33
	s_mul_i32 s25, s25, s45
	s_add_i32 s25, s33, s25
	s_add_u32 s42, s42, 1
	s_addc_u32 s43, s43, 0
	v_addc_co_u32_e32 v2, vcc, v5, v2, vcc
	s_mul_i32 s24, s24, s45
	s_add_u32 s36, s36, 8
	v_mov_b32_e32 v5, s25
	v_add_co_u32_e32 v24, vcc, s24, v24
	s_addc_u32 s37, s37, 0
	v_addc_co_u32_e32 v25, vcc, v5, v25, vcc
	s_add_u32 s38, s38, 8
	s_addc_u32 s39, s39, 0
	v_cmp_ge_u64_e32 vcc, s[42:43], v[3:4]
	s_add_u32 s40, s40, 8
	s_addc_u32 s41, s41, 0
	s_mov_b64 s[24:25], s[0:1]
	s_cbranch_vccnz .LBB0_9
.LBB0_5:                                ; =>This Inner Loop Header: Depth=1
	s_load_dwordx2 s[46:47], s[40:41], 0x0
	s_waitcnt lgkmcnt(0)
	s_or_b64 s[0:1], s[24:25], s[46:47]
	s_mov_b32 s45, s1
	s_cmp_lg_u64 s[44:45], 0
	s_cbranch_scc0 .LBB0_7
; %bb.6:                                ;   in Loop: Header=BB0_5 Depth=1
	v_cvt_f32_u32_e32 v5, s46
	v_cvt_f32_u32_e32 v6, s47
	s_sub_u32 s0, 0, s46
	s_subb_u32 s1, 0, s47
	v_mac_f32_e32 v5, 0x4f800000, v6
	v_rcp_f32_e32 v5, v5
	v_mul_f32_e32 v5, 0x5f7ffffc, v5
	v_mul_f32_e32 v6, 0x2f800000, v5
	v_trunc_f32_e32 v6, v6
	v_mac_f32_e32 v5, 0xcf800000, v6
	v_cvt_u32_f32_e32 v6, v6
	v_cvt_u32_f32_e32 v5, v5
	v_readfirstlane_b32 s33, v6
	v_readfirstlane_b32 s45, v5
	s_mul_i32 s48, s0, s33
	s_mul_hi_u32 s50, s0, s45
	s_mul_i32 s49, s1, s45
	s_add_i32 s48, s50, s48
	s_mul_i32 s51, s0, s45
	s_add_i32 s48, s48, s49
	s_mul_hi_u32 s49, s45, s48
	s_mul_i32 s50, s45, s48
	s_mul_hi_u32 s45, s45, s51
	s_add_u32 s45, s45, s50
	s_addc_u32 s49, 0, s49
	s_mul_hi_u32 s52, s33, s51
	s_mul_i32 s51, s33, s51
	s_add_u32 s45, s45, s51
	s_mul_hi_u32 s50, s33, s48
	s_addc_u32 s45, s49, s52
	s_addc_u32 s49, s50, 0
	s_mul_i32 s48, s33, s48
	s_add_u32 s45, s45, s48
	s_addc_u32 s48, 0, s49
	v_add_co_u32_e32 v5, vcc, s45, v5
	s_cmp_lg_u64 vcc, 0
	s_addc_u32 s33, s33, s48
	v_readfirstlane_b32 s48, v5
	s_mul_i32 s45, s0, s33
	s_mul_hi_u32 s49, s0, s48
	s_add_i32 s45, s49, s45
	s_mul_i32 s1, s1, s48
	s_add_i32 s45, s45, s1
	s_mul_i32 s0, s0, s48
	s_mul_hi_u32 s49, s33, s0
	s_mul_i32 s50, s33, s0
	s_mul_i32 s52, s48, s45
	s_mul_hi_u32 s0, s48, s0
	s_mul_hi_u32 s51, s48, s45
	s_add_u32 s0, s0, s52
	s_addc_u32 s48, 0, s51
	s_add_u32 s0, s0, s50
	s_mul_hi_u32 s1, s33, s45
	s_addc_u32 s0, s48, s49
	s_addc_u32 s1, s1, 0
	s_mul_i32 s45, s33, s45
	s_add_u32 s0, s0, s45
	s_addc_u32 s1, 0, s1
	v_add_co_u32_e32 v5, vcc, s0, v5
	s_cmp_lg_u64 vcc, 0
	s_addc_u32 s0, s33, s1
	v_readfirstlane_b32 s45, v5
	s_mul_i32 s33, s24, s0
	s_mul_hi_u32 s48, s24, s45
	s_mul_hi_u32 s1, s24, s0
	s_add_u32 s33, s48, s33
	s_addc_u32 s1, 0, s1
	s_mul_hi_u32 s49, s25, s45
	s_mul_i32 s45, s25, s45
	s_add_u32 s33, s33, s45
	s_mul_hi_u32 s48, s25, s0
	s_addc_u32 s1, s1, s49
	s_addc_u32 s33, s48, 0
	s_mul_i32 s0, s25, s0
	s_add_u32 s45, s1, s0
	s_addc_u32 s33, 0, s33
	s_mul_i32 s0, s46, s33
	s_mul_hi_u32 s1, s46, s45
	s_add_i32 s0, s1, s0
	s_mul_i32 s1, s47, s45
	s_add_i32 s48, s0, s1
	s_mul_i32 s1, s46, s45
	v_mov_b32_e32 v5, s1
	s_sub_i32 s0, s25, s48
	v_sub_co_u32_e32 v5, vcc, s24, v5
	s_cmp_lg_u64 vcc, 0
	s_subb_u32 s49, s0, s47
	v_subrev_co_u32_e64 v6, s[0:1], s46, v5
	s_cmp_lg_u64 s[0:1], 0
	s_subb_u32 s0, s49, 0
	s_cmp_ge_u32 s0, s47
	v_readfirstlane_b32 s49, v6
	s_cselect_b32 s1, -1, 0
	s_cmp_ge_u32 s49, s46
	s_cselect_b32 s49, -1, 0
	s_cmp_eq_u32 s0, s47
	s_cselect_b32 s0, s49, s1
	s_add_u32 s1, s45, 1
	s_addc_u32 s49, s33, 0
	s_add_u32 s50, s45, 2
	s_addc_u32 s51, s33, 0
	s_cmp_lg_u32 s0, 0
	s_cselect_b32 s0, s50, s1
	s_cselect_b32 s1, s51, s49
	s_cmp_lg_u64 vcc, 0
	s_subb_u32 s48, s25, s48
	s_cmp_ge_u32 s48, s47
	v_readfirstlane_b32 s50, v5
	s_cselect_b32 s49, -1, 0
	s_cmp_ge_u32 s50, s46
	s_cselect_b32 s50, -1, 0
	s_cmp_eq_u32 s48, s47
	s_cselect_b32 s48, s50, s49
	s_cmp_lg_u32 s48, 0
	s_cselect_b32 s1, s1, s33
	s_cselect_b32 s0, s0, s45
	s_cbranch_execnz .LBB0_4
	s_branch .LBB0_8
.LBB0_7:                                ;   in Loop: Header=BB0_5 Depth=1
                                        ; implicit-def: $sgpr0_sgpr1
.LBB0_8:                                ;   in Loop: Header=BB0_5 Depth=1
	v_cvt_f32_u32_e32 v5, s46
	s_sub_i32 s0, 0, s46
	v_rcp_iflag_f32_e32 v5, v5
	v_mul_f32_e32 v5, 0x4f7ffffe, v5
	v_cvt_u32_f32_e32 v5, v5
	v_readfirstlane_b32 s1, v5
	s_mul_i32 s0, s0, s1
	s_mul_hi_u32 s0, s1, s0
	s_add_i32 s1, s1, s0
	s_mul_hi_u32 s0, s24, s1
	s_mul_i32 s33, s0, s46
	s_sub_i32 s33, s24, s33
	s_add_i32 s1, s0, 1
	s_sub_i32 s45, s33, s46
	s_cmp_ge_u32 s33, s46
	s_cselect_b32 s0, s1, s0
	s_cselect_b32 s33, s45, s33
	s_add_i32 s1, s0, 1
	s_cmp_ge_u32 s33, s46
	s_cselect_b32 s0, s1, s0
	s_mov_b32 s1, s44
	s_branch .LBB0_4
.LBB0_9:
	v_mov_b32_e32 v3, s34
	v_mov_b32_e32 v4, s35
	v_cmp_lt_u64_e32 vcc, s[6:7], v[3:4]
	s_mov_b64 s[24:25], 0
	s_cbranch_vccnz .LBB0_11
; %bb.10:
	v_cvt_f32_u32_e32 v3, s34
	s_sub_i32 s0, 0, s34
	v_rcp_iflag_f32_e32 v3, v3
	v_mul_f32_e32 v3, 0x4f7ffffe, v3
	v_cvt_u32_f32_e32 v3, v3
	v_readfirstlane_b32 s1, v3
	s_mul_i32 s0, s0, s1
	s_mul_hi_u32 s0, s1, s0
	s_add_i32 s1, s1, s0
	s_mul_hi_u32 s0, s6, s1
	s_mul_i32 s7, s0, s34
	s_sub_i32 s6, s6, s7
	s_add_i32 s1, s0, 1
	s_sub_i32 s7, s6, s34
	s_cmp_ge_u32 s6, s34
	s_cselect_b32 s0, s1, s0
	s_cselect_b32 s6, s7, s6
	s_add_i32 s1, s0, 1
	s_cmp_ge_u32 s6, s34
	s_cselect_b32 s24, s1, s0
.LBB0_11:
	s_lshl_b64 s[34:35], s[18:19], 3
	s_add_u32 s6, s30, s34
	s_addc_u32 s7, s31, s35
	s_add_u32 s0, s4, 16
	v_mov_b32_e32 v3, s28
	s_addc_u32 s1, s5, 0
	v_mov_b32_e32 v4, s29
	v_and_b32_e32 v31, 15, v0
	v_cmp_le_u64_e32 vcc, s[0:1], v[3:4]
	v_or_b32_e32 v3, s4, v31
	v_mov_b32_e32 v4, s5
	v_cmp_gt_u64_e64 s[0:1], s[28:29], v[3:4]
	v_lshrrev_b32_e32 v33, 4, v0
	s_or_b64 s[0:1], vcc, s[0:1]
	v_lshlrev_b32_e32 v32, 3, v33
	v_add_u32_e32 v30, 13, v33
	v_add_u32_e32 v29, 26, v33
	;; [unrolled: 1-line block ×3, first 2 shown]
	s_and_saveexec_b64 s[18:19], s[0:1]
	s_cbranch_execz .LBB0_13
; %bb.12:
	s_add_u32 s2, s2, s34
	s_addc_u32 s3, s3, s35
	s_load_dwordx2 s[2:3], s[2:3], 0x0
	v_mad_u64_u32 v[3:4], s[28:29], s22, v31, 0
	v_mad_u64_u32 v[5:6], s[28:29], s20, v33, 0
	s_waitcnt lgkmcnt(0)
	s_mul_i32 s3, s3, s24
	s_mul_hi_u32 s5, s2, s24
	v_mad_u64_u32 v[7:8], s[22:23], s23, v31, v[4:5]
	v_mov_b32_e32 v4, v6
	v_mad_u64_u32 v[8:9], s[22:23], s21, v33, v[4:5]
	s_add_i32 s3, s5, s3
	s_mul_i32 s2, s2, s24
	s_lshl_b64 s[2:3], s[2:3], 3
	s_add_u32 s2, s12, s2
	v_lshlrev_b64 v[1:2], 3, v[1:2]
	s_addc_u32 s3, s13, s3
	v_mov_b32_e32 v4, v7
	v_mov_b32_e32 v6, v8
	;; [unrolled: 1-line block ×3, first 2 shown]
	v_add_co_u32_e32 v8, vcc, s2, v1
	v_addc_co_u32_e32 v7, vcc, v7, v2, vcc
	v_lshlrev_b64 v[1:2], 3, v[3:4]
	v_mad_u64_u32 v[3:4], s[2:3], s20, v30, 0
	v_add_co_u32_e32 v10, vcc, v8, v1
	v_addc_co_u32_e32 v11, vcc, v7, v2, vcc
	v_lshlrev_b64 v[1:2], 3, v[5:6]
	v_mad_u64_u32 v[4:5], s[2:3], s21, v30, v[4:5]
	v_mad_u64_u32 v[5:6], s[2:3], s20, v29, 0
	v_add_co_u32_e32 v1, vcc, v10, v1
	v_mad_u64_u32 v[6:7], s[2:3], s21, v29, v[6:7]
	v_mad_u64_u32 v[7:8], s[2:3], s20, v28, 0
	v_lshlrev_b64 v[3:4], 3, v[3:4]
	v_addc_co_u32_e32 v2, vcc, v11, v2, vcc
	v_mad_u64_u32 v[8:9], s[2:3], s21, v28, v[8:9]
	v_add_co_u32_e32 v3, vcc, v10, v3
	v_lshlrev_b64 v[5:6], 3, v[5:6]
	v_addc_co_u32_e32 v4, vcc, v11, v4, vcc
	v_add_co_u32_e32 v5, vcc, v10, v5
	v_lshlrev_b64 v[7:8], 3, v[7:8]
	v_addc_co_u32_e32 v6, vcc, v11, v6, vcc
	v_add_co_u32_e32 v7, vcc, v10, v7
	v_addc_co_u32_e32 v8, vcc, v11, v8, vcc
	global_load_dwordx2 v[9:10], v[1:2], off
	global_load_dwordx2 v[11:12], v[3:4], off
	;; [unrolled: 1-line block ×4, first 2 shown]
	v_mul_u32_u24_e32 v1, 0x1a0, v31
	v_add3_u32 v1, 0, v1, v32
	s_waitcnt vmcnt(2)
	ds_write2_b64 v1, v[9:10], v[11:12] offset1:13
	s_waitcnt vmcnt(0)
	ds_write2_b64 v1, v[13:14], v[15:16] offset0:26 offset1:39
.LBB0_13:
	s_or_b64 exec, exec, s[18:19]
	s_movk_i32 s2, 0x4ec5
	v_mul_u32_u24_sdwa v1, v0, s2 dst_sel:DWORD dst_unused:UNUSED_PAD src0_sel:WORD_0 src1_sel:DWORD
	v_lshrrev_b32_e32 v37, 18, v1
	v_mul_lo_u16_e32 v2, 13, v37
	v_and_b32_e32 v1, 15, v37
	v_sub_u16_e32 v36, v0, v2
	v_mul_lo_u16_e32 v1, 52, v1
	v_lshlrev_b32_e32 v0, 3, v36
	v_lshlrev_b32_e32 v38, 3, v1
	v_add_u32_e32 v39, 0, v0
	v_add3_u32 v35, 0, v38, v0
	v_add_u32_e32 v34, v39, v38
	s_waitcnt lgkmcnt(0)
	s_barrier
	ds_read_b64 v[26:27], v35
	ds_read2_b64 v[0:3], v34 offset0:4 offset1:8
	ds_read2_b64 v[8:11], v34 offset0:12 offset1:16
	;; [unrolled: 1-line block ×6, first 2 shown]
	v_cmp_gt_u16_e32 vcc, 4, v36
	s_waitcnt lgkmcnt(0)
	s_barrier
	s_and_saveexec_b64 s[2:3], vcc
	s_cbranch_execz .LBB0_15
; %bb.14:
	v_add_f32_e32 v45, v27, v1
	v_add_f32_e32 v45, v45, v3
	;; [unrolled: 1-line block ×9, first 2 shown]
	v_sub_f32_e32 v44, v20, v18
	v_add_f32_e32 v42, v18, v20
	v_add_f32_e32 v45, v45, v23
	v_add_f32_e32 v20, v46, v20
	v_sub_f32_e32 v43, v22, v16
	v_add_f32_e32 v41, v17, v23
	v_add_f32_e32 v20, v20, v22
	v_add_f32_e32 v46, v16, v22
	;; [unrolled: 4-line block ×3, first 2 shown]
	v_sub_f32_e32 v23, v8, v14
	v_add_f32_e32 v16, v16, v18
	v_add_f32_e32 v48, v14, v8
	v_sub_f32_e32 v50, v0, v6
	v_add_f32_e32 v8, v17, v13
	v_add_f32_e32 v40, v19, v21
	v_sub_f32_e32 v21, v21, v19
	v_add_f32_e32 v45, v15, v9
	v_sub_f32_e32 v18, v10, v12
	v_sub_f32_e32 v19, v9, v15
	v_add_f32_e32 v49, v12, v10
	v_add_f32_e32 v8, v8, v15
	;; [unrolled: 1-line block ×3, first 2 shown]
	v_sub_f32_e32 v12, v2, v4
	v_mul_f32_e32 v15, 0xbe750f2a, v50
	v_add_f32_e32 v51, v7, v1
	v_add_f32_e32 v54, v4, v2
	v_mov_b32_e32 v2, v15
	v_mul_f32_e32 v16, 0x3eedf032, v12
	v_add_f32_e32 v9, v9, v14
	v_add_f32_e32 v52, v5, v3
	v_sub_f32_e32 v14, v3, v5
	v_fmac_f32_e32 v2, 0xbf788fa5, v51
	v_mov_b32_e32 v3, v16
	v_add_f32_e32 v2, v27, v2
	v_fmac_f32_e32 v3, 0x3f62ad3f, v52
	v_mul_f32_e32 v17, 0xbf29c268, v23
	v_add_f32_e32 v2, v3, v2
	v_mov_b32_e32 v3, v17
	v_fmac_f32_e32 v3, 0xbf3f9e67, v45
	v_mul_f32_e32 v55, 0x3f52af12, v18
	v_add_f32_e32 v47, v13, v11
	v_add_f32_e32 v2, v3, v2
	v_mov_b32_e32 v3, v55
	v_fmac_f32_e32 v3, 0x3f116cb1, v47
	v_mul_f32_e32 v56, 0xbf6f5d39, v44
	v_sub_f32_e32 v20, v11, v13
	v_sub_f32_e32 v13, v1, v7
	v_add_f32_e32 v2, v3, v2
	v_mov_b32_e32 v3, v56
	v_add_f32_e32 v53, v6, v0
	v_fmac_f32_e32 v3, 0xbeb58ec6, v40
	s_mov_b32 s5, 0xbf788fa5
	v_mul_f32_e32 v57, 0xbe750f2a, v13
	v_add_f32_e32 v0, v8, v5
	v_add_f32_e32 v2, v3, v2
	s_mov_b32 s19, 0x3f62ad3f
	v_fma_f32 v3, v53, s5, -v57
	v_mul_f32_e32 v58, 0x3eedf032, v14
	v_add_f32_e32 v1, v0, v7
	v_add_f32_e32 v0, v9, v4
	;; [unrolled: 1-line block ×3, first 2 shown]
	v_fma_f32 v4, v54, s19, -v58
	s_mov_b32 s12, 0xbf3f9e67
	v_mul_f32_e32 v59, 0xbf29c268, v19
	v_add_f32_e32 v3, v4, v3
	v_fma_f32 v4, v48, s12, -v59
	s_mov_b32 s13, 0x3f116cb1
	v_mul_f32_e32 v60, 0x3f52af12, v20
	v_add_f32_e32 v3, v4, v3
	;; [unrolled: 4-line block ×3, first 2 shown]
	v_fma_f32 v4, v42, s18, -v61
	v_mul_f32_e32 v62, 0x3f7e222b, v43
	v_add_f32_e32 v4, v4, v3
	v_mov_b32_e32 v3, v62
	s_mov_b32 s20, 0x3df6dbef
	v_fmac_f32_e32 v3, 0x3df6dbef, v41
	v_mul_f32_e32 v63, 0x3f7e222b, v22
	v_add_f32_e32 v3, v3, v2
	v_fma_f32 v2, v46, s20, -v63
	v_mul_f32_e32 v64, 0xbf29c268, v50
	v_add_f32_e32 v2, v2, v4
	v_mov_b32_e32 v4, v64
	v_mul_f32_e32 v65, 0x3f7e222b, v12
	v_fmac_f32_e32 v4, 0xbf3f9e67, v51
	v_mov_b32_e32 v5, v65
	v_add_f32_e32 v4, v27, v4
	v_fmac_f32_e32 v5, 0x3df6dbef, v52
	v_mul_f32_e32 v66, 0xbf52af12, v23
	v_add_f32_e32 v4, v5, v4
	v_mov_b32_e32 v5, v66
	v_fmac_f32_e32 v5, 0x3f116cb1, v45
	v_mul_f32_e32 v67, 0x3e750f2a, v18
	v_add_f32_e32 v4, v5, v4
	v_mov_b32_e32 v5, v67
	v_fmac_f32_e32 v5, 0xbf788fa5, v47
	v_mul_f32_e32 v68, 0x3eedf032, v44
	v_add_f32_e32 v4, v5, v4
	v_mov_b32_e32 v5, v68
	v_fmac_f32_e32 v5, 0x3f62ad3f, v40
	v_mul_f32_e32 v69, 0xbf29c268, v13
	v_add_f32_e32 v4, v5, v4
	v_fma_f32 v5, v53, s12, -v69
	v_mul_f32_e32 v70, 0x3f7e222b, v14
	v_add_f32_e32 v0, v0, v6
	v_add_f32_e32 v5, v26, v5
	v_fma_f32 v6, v54, s20, -v70
	v_mul_f32_e32 v71, 0xbf52af12, v19
	v_add_f32_e32 v5, v6, v5
	v_fma_f32 v6, v48, s13, -v71
	v_mul_f32_e32 v72, 0x3e750f2a, v20
	v_add_f32_e32 v5, v6, v5
	v_fma_f32 v6, v49, s5, -v72
	v_mul_f32_e32 v73, 0x3eedf032, v21
	v_add_f32_e32 v5, v6, v5
	v_fma_f32 v6, v42, s19, -v73
	v_mul_f32_e32 v74, 0xbf6f5d39, v43
	v_add_f32_e32 v6, v6, v5
	v_mov_b32_e32 v5, v74
	v_fmac_f32_e32 v5, 0xbeb58ec6, v41
	v_mul_f32_e32 v75, 0xbf6f5d39, v22
	v_add_f32_e32 v5, v5, v4
	v_fma_f32 v4, v46, s18, -v75
	v_mul_f32_e32 v76, 0xbf6f5d39, v50
	v_add_f32_e32 v4, v4, v6
	v_mov_b32_e32 v6, v76
	v_mul_f32_e32 v77, 0x3f29c268, v12
	v_fmac_f32_e32 v6, 0xbeb58ec6, v51
	v_mov_b32_e32 v7, v77
	v_add_f32_e32 v6, v27, v6
	v_fmac_f32_e32 v7, 0xbf3f9e67, v52
	v_mul_f32_e32 v78, 0x3eedf032, v23
	v_add_f32_e32 v6, v7, v6
	v_mov_b32_e32 v7, v78
	v_fmac_f32_e32 v7, 0x3f62ad3f, v45
	v_mul_f32_e32 v79, 0xbf7e222b, v18
	v_add_f32_e32 v6, v7, v6
	v_mov_b32_e32 v7, v79
	v_fmac_f32_e32 v7, 0x3df6dbef, v47
	v_mul_f32_e32 v80, 0x3e750f2a, v44
	v_add_f32_e32 v6, v7, v6
	v_mov_b32_e32 v7, v80
	v_fmac_f32_e32 v7, 0xbf788fa5, v40
	v_mul_f32_e32 v81, 0xbf6f5d39, v13
	v_add_f32_e32 v6, v7, v6
	v_fma_f32 v7, v53, s18, -v81
	v_mul_f32_e32 v82, 0x3f29c268, v14
	v_add_f32_e32 v7, v26, v7
	v_fma_f32 v8, v54, s12, -v82
	v_mul_f32_e32 v83, 0x3eedf032, v19
	v_add_f32_e32 v7, v8, v7
	v_fma_f32 v8, v48, s19, -v83
	v_mul_f32_e32 v84, 0xbf7e222b, v20
	v_add_f32_e32 v7, v8, v7
	v_fma_f32 v8, v49, s20, -v84
	v_mul_f32_e32 v85, 0x3e750f2a, v21
	v_add_f32_e32 v7, v8, v7
	v_fma_f32 v8, v42, s5, -v85
	v_mul_f32_e32 v86, 0x3f52af12, v43
	v_add_f32_e32 v8, v8, v7
	v_mov_b32_e32 v7, v86
	v_fmac_f32_e32 v7, 0x3f116cb1, v41
	v_mul_f32_e32 v87, 0x3f52af12, v22
	v_add_f32_e32 v7, v7, v6
	v_fma_f32 v6, v46, s13, -v87
	v_mul_f32_e32 v88, 0xbf7e222b, v50
	v_add_f32_e32 v6, v6, v8
	v_mov_b32_e32 v8, v88
	v_mul_f32_e32 v89, 0xbe750f2a, v12
	v_fmac_f32_e32 v8, 0x3df6dbef, v51
	v_mov_b32_e32 v9, v89
	v_add_f32_e32 v8, v27, v8
	v_fmac_f32_e32 v9, 0xbf788fa5, v52
	v_mul_f32_e32 v90, 0x3f6f5d39, v23
	v_add_f32_e32 v8, v9, v8
	v_mov_b32_e32 v9, v90
	v_fmac_f32_e32 v9, 0xbeb58ec6, v45
	v_mul_f32_e32 v91, 0x3eedf032, v18
	v_add_f32_e32 v8, v9, v8
	v_mov_b32_e32 v9, v91
	v_fmac_f32_e32 v9, 0x3f62ad3f, v47
	v_mul_f32_e32 v92, 0xbf52af12, v44
	v_add_f32_e32 v8, v9, v8
	v_mov_b32_e32 v9, v92
	v_fmac_f32_e32 v9, 0x3f116cb1, v40
	v_mul_f32_e32 v93, 0xbf7e222b, v13
	v_add_f32_e32 v8, v9, v8
	v_fma_f32 v9, v53, s20, -v93
	v_mul_f32_e32 v94, 0xbe750f2a, v14
	;; [unrolled: 42-line block ×3, first 2 shown]
	v_add_f32_e32 v11, v26, v11
	v_fma_f32 v107, v54, s18, -v106
	v_add_f32_e32 v11, v107, v11
	v_mul_f32_e32 v107, 0xbe750f2a, v19
	v_fma_f32 v108, v48, s5, -v107
	v_add_f32_e32 v11, v108, v11
	v_mul_f32_e32 v108, 0x3f29c268, v20
	;; [unrolled: 3-line block ×3, first 2 shown]
	v_fma_f32 v110, v42, s20, -v109
	v_mul_f32_e32 v111, 0x3eedf032, v43
	v_add_f32_e32 v110, v110, v11
	v_mov_b32_e32 v11, v111
	v_fmac_f32_e32 v11, 0x3f62ad3f, v41
	v_mul_f32_e32 v112, 0x3eedf032, v22
	v_add_f32_e32 v11, v11, v10
	v_fma_f32 v10, v46, s19, -v112
	v_mul_f32_e32 v50, 0xbeedf032, v50
	v_add_f32_e32 v10, v10, v110
	v_mov_b32_e32 v110, v50
	v_mul_f32_e32 v113, 0xbf52af12, v12
	v_fmac_f32_e32 v110, 0x3f62ad3f, v51
	v_mov_b32_e32 v12, v113
	v_add_f32_e32 v110, v27, v110
	v_fmac_f32_e32 v12, 0x3f116cb1, v52
	v_mul_f32_e32 v115, 0xbeedf032, v13
	v_add_f32_e32 v12, v12, v110
	v_mul_f32_e32 v110, 0xbf7e222b, v23
	v_fma_f32 v13, v53, s19, -v115
	v_mul_f32_e32 v116, 0xbf52af12, v14
	v_mov_b32_e32 v23, v110
	v_mul_f32_e32 v114, 0xbf6f5d39, v18
	v_add_f32_e32 v13, v26, v13
	v_fma_f32 v14, v54, s13, -v116
	v_mul_f32_e32 v117, 0xbf7e222b, v19
	v_fmac_f32_e32 v23, 0x3df6dbef, v45
	v_mov_b32_e32 v18, v114
	v_add_f32_e32 v13, v14, v13
	v_fma_f32 v14, v48, s20, -v117
	v_mul_f32_e32 v118, 0xbf6f5d39, v20
	v_add_f32_e32 v12, v23, v12
	v_fmac_f32_e32 v18, 0xbeb58ec6, v47
	v_mul_f32_e32 v44, 0xbf29c268, v44
	v_add_f32_e32 v13, v14, v13
	v_fma_f32 v14, v49, s18, -v118
	v_mul_f32_e32 v119, 0xbf29c268, v21
	v_add_f32_e32 v12, v18, v12
	v_mov_b32_e32 v18, v44
	v_add_f32_e32 v13, v14, v13
	v_fma_f32 v14, v42, s12, -v119
	v_mul_f32_e32 v43, 0xbe750f2a, v43
	v_fmac_f32_e32 v18, 0xbf3f9e67, v40
	v_add_f32_e32 v14, v14, v13
	v_mov_b32_e32 v13, v43
	v_add_f32_e32 v12, v18, v12
	v_fmac_f32_e32 v13, 0xbf788fa5, v41
	v_mul_f32_e32 v120, 0xbe750f2a, v22
	v_add_f32_e32 v13, v13, v12
	v_fma_f32 v12, v46, s5, -v120
	v_add_f32_e32 v12, v12, v14
	v_fma_f32 v14, v51, s5, -v15
	;; [unrolled: 2-line block ×6, first 2 shown]
	v_fmac_f32_e32 v57, 0xbf788fa5, v53
	v_add_f32_e32 v14, v15, v14
	v_add_f32_e32 v15, v26, v57
	v_fmac_f32_e32 v58, 0x3f62ad3f, v54
	v_add_f32_e32 v15, v58, v15
	v_fmac_f32_e32 v59, 0xbf3f9e67, v48
	v_add_f32_e32 v15, v59, v15
	v_fmac_f32_e32 v60, 0x3f116cb1, v49
	v_add_f32_e32 v15, v60, v15
	v_fmac_f32_e32 v61, 0xbeb58ec6, v42
	v_add_f32_e32 v16, v61, v15
	v_fma_f32 v15, v41, s20, -v62
	v_fmac_f32_e32 v63, 0x3df6dbef, v46
	v_add_f32_e32 v15, v15, v14
	v_add_f32_e32 v14, v63, v16
	v_fma_f32 v16, v51, s12, -v64
	v_add_f32_e32 v16, v27, v16
	v_fma_f32 v17, v52, s20, -v65
	v_add_f32_e32 v16, v17, v16
	v_fma_f32 v17, v45, s13, -v66
	v_add_f32_e32 v16, v17, v16
	v_fma_f32 v17, v47, s5, -v67
	v_add_f32_e32 v16, v17, v16
	v_fma_f32 v17, v40, s19, -v68
	v_fmac_f32_e32 v69, 0xbf3f9e67, v53
	v_add_f32_e32 v16, v17, v16
	v_add_f32_e32 v17, v26, v69
	v_fmac_f32_e32 v70, 0x3df6dbef, v54
	v_add_f32_e32 v17, v70, v17
	v_fmac_f32_e32 v71, 0x3f116cb1, v48
	v_add_f32_e32 v17, v71, v17
	v_fmac_f32_e32 v72, 0xbf788fa5, v49
	v_add_f32_e32 v17, v72, v17
	v_fmac_f32_e32 v73, 0x3f62ad3f, v42
	v_add_f32_e32 v18, v73, v17
	v_fma_f32 v17, v41, s18, -v74
	v_fmac_f32_e32 v75, 0xbeb58ec6, v46
	v_add_f32_e32 v17, v17, v16
	v_add_f32_e32 v16, v75, v18
	v_fma_f32 v18, v51, s18, -v76
	v_add_f32_e32 v18, v27, v18
	v_fma_f32 v19, v52, s12, -v77
	v_add_f32_e32 v18, v19, v18
	v_fma_f32 v19, v45, s19, -v78
	v_add_f32_e32 v18, v19, v18
	v_fma_f32 v19, v47, s20, -v79
	v_add_f32_e32 v18, v19, v18
	v_fma_f32 v19, v40, s5, -v80
	;; [unrolled: 24-line block ×3, first 2 shown]
	v_fmac_f32_e32 v93, 0x3df6dbef, v53
	v_add_f32_e32 v20, v21, v20
	v_add_f32_e32 v21, v26, v93
	v_fmac_f32_e32 v94, 0xbf788fa5, v54
	v_add_f32_e32 v21, v94, v21
	v_fmac_f32_e32 v95, 0xbeb58ec6, v48
	;; [unrolled: 2-line block ×4, first 2 shown]
	v_add_f32_e32 v22, v97, v21
	v_fma_f32 v21, v41, s12, -v98
	v_fmac_f32_e32 v99, 0xbf3f9e67, v46
	v_add_f32_e32 v21, v21, v20
	v_add_f32_e32 v20, v99, v22
	v_fma_f32 v22, v51, s13, -v100
	v_add_f32_e32 v22, v27, v22
	v_fma_f32 v23, v52, s18, -v101
	;; [unrolled: 2-line block ×3, first 2 shown]
	v_fma_f32 v50, v51, s19, -v50
	v_add_f32_e32 v22, v23, v22
	v_fma_f32 v23, v47, s12, -v103
	v_add_f32_e32 v27, v27, v50
	;; [unrolled: 2-line block ×3, first 2 shown]
	v_fma_f32 v23, v40, s20, -v104
	v_fmac_f32_e32 v105, 0x3f116cb1, v53
	v_fmac_f32_e32 v115, 0x3f62ad3f, v53
	v_add_f32_e32 v27, v50, v27
	v_fma_f32 v45, v45, s20, -v110
	v_add_f32_e32 v22, v23, v22
	v_add_f32_e32 v23, v26, v105
	v_fmac_f32_e32 v106, 0xbeb58ec6, v54
	v_add_f32_e32 v26, v26, v115
	v_add_f32_e32 v27, v45, v27
	v_fma_f32 v45, v47, s18, -v114
	v_fmac_f32_e32 v116, 0x3f116cb1, v54
	v_add_f32_e32 v23, v106, v23
	v_fmac_f32_e32 v107, 0xbf788fa5, v48
	v_add_f32_e32 v27, v45, v27
	v_fma_f32 v40, v40, s12, -v44
	v_add_f32_e32 v26, v116, v26
	v_fmac_f32_e32 v117, 0x3df6dbef, v48
	v_add_f32_e32 v23, v107, v23
	v_fmac_f32_e32 v108, 0xbf3f9e67, v49
	v_add_f32_e32 v27, v40, v27
	v_fma_f32 v40, v41, s5, -v43
	v_add_f32_e32 v26, v117, v26
	v_fmac_f32_e32 v118, 0xbeb58ec6, v49
	v_add_f32_e32 v23, v108, v23
	v_fmac_f32_e32 v109, 0x3df6dbef, v42
	v_add_f32_e32 v27, v40, v27
	v_add_f32_e32 v26, v118, v26
	v_fmac_f32_e32 v119, 0xbf3f9e67, v42
	v_mul_u32_u24_e32 v40, 0x60, v36
	v_add_f32_e32 v55, v109, v23
	v_fma_f32 v23, v41, s19, -v111
	v_fmac_f32_e32 v112, 0x3f62ad3f, v46
	v_add_f32_e32 v26, v119, v26
	v_fmac_f32_e32 v120, 0xbf788fa5, v46
	v_add3_u32 v38, v39, v40, v38
	v_add_f32_e32 v23, v23, v22
	v_add_f32_e32 v22, v112, v55
	;; [unrolled: 1-line block ×3, first 2 shown]
	ds_write2_b64 v38, v[0:1], v[12:13] offset1:1
	ds_write2_b64 v38, v[10:11], v[8:9] offset0:2 offset1:3
	ds_write2_b64 v38, v[6:7], v[4:5] offset0:4 offset1:5
	;; [unrolled: 1-line block ×5, first 2 shown]
	ds_write_b64 v38, v[26:27] offset:96
.LBB0_15:
	s_or_b64 exec, exec, s[2:3]
	v_mul_u32_u24_e32 v0, 3, v36
	v_lshlrev_b32_e32 v4, 3, v0
	s_load_dwordx2 s[2:3], s[6:7], 0x0
	s_waitcnt lgkmcnt(0)
	s_barrier
	global_load_dwordx4 v[0:3], v4, s[26:27]
	global_load_dwordx2 v[8:9], v4, s[26:27] offset:16
	v_add_u32_sdwa v4, s4, v37 dst_sel:DWORD dst_unused:UNUSED_PAD src0_sel:DWORD src1_sel:WORD_0
	v_add_u32_e32 v7, 13, v36
	v_mul_lo_u32 v5, v4, v36
	v_mul_lo_u32 v7, v4, v7
	v_mov_b32_e32 v6, 3
	v_mov_b32_e32 v42, 0x1000
	v_lshlrev_b32_sdwa v14, v6, v5 dst_sel:DWORD dst_unused:UNUSED_PAD src0_sel:DWORD src1_sel:BYTE_0
	v_lshlrev_b32_sdwa v15, v6, v5 dst_sel:DWORD dst_unused:UNUSED_PAD src0_sel:DWORD src1_sel:BYTE_1
	v_bfe_u32 v5, v5, 16, 8
	v_lshlrev_b32_sdwa v18, v6, v7 dst_sel:DWORD dst_unused:UNUSED_PAD src0_sel:DWORD src1_sel:BYTE_0
	v_lshlrev_b32_sdwa v19, v6, v7 dst_sel:DWORD dst_unused:UNUSED_PAD src0_sel:DWORD src1_sel:BYTE_1
	v_bfe_u32 v7, v7, 16, 8
	global_load_dwordx2 v[10:11], v14, s[16:17]
	global_load_dwordx2 v[12:13], v15, s[16:17] offset:2048
	v_lshl_or_b32 v5, v5, 3, v42
	v_lshl_or_b32 v7, v7, 3, v42
	global_load_dwordx2 v[14:15], v19, s[16:17] offset:2048
	global_load_dwordx2 v[16:17], v18, s[16:17]
	global_load_dwordx2 v[20:21], v7, s[16:17]
	s_nop 0
	global_load_dwordx2 v[18:19], v5, s[16:17]
	v_add_u32_e32 v5, 26, v36
	v_mul_lo_u32 v5, v4, v5
	v_lshlrev_b32_sdwa v7, v6, v5 dst_sel:DWORD dst_unused:UNUSED_PAD src0_sel:DWORD src1_sel:BYTE_0
	v_lshlrev_b32_sdwa v37, v6, v5 dst_sel:DWORD dst_unused:UNUSED_PAD src0_sel:DWORD src1_sel:BYTE_1
	global_load_dwordx2 v[22:23], v7, s[16:17]
	global_load_dwordx2 v[26:27], v37, s[16:17] offset:2048
	v_add_u32_e32 v7, 39, v36
	v_bfe_u32 v5, v5, 16, 8
	v_mul_lo_u32 v4, v4, v7
	v_lshl_or_b32 v5, v5, 3, v42
	global_load_dwordx2 v[36:37], v5, s[16:17]
	v_lshlrev_b32_sdwa v5, v6, v4 dst_sel:DWORD dst_unused:UNUSED_PAD src0_sel:DWORD src1_sel:BYTE_0
	v_lshlrev_b32_sdwa v6, v6, v4 dst_sel:DWORD dst_unused:UNUSED_PAD src0_sel:DWORD src1_sel:BYTE_1
	global_load_dwordx2 v[38:39], v5, s[16:17]
	global_load_dwordx2 v[40:41], v6, s[16:17] offset:2048
	v_bfe_u32 v4, v4, 16, 8
	v_lshl_or_b32 v4, v4, 3, v42
	global_load_dwordx2 v[42:43], v4, s[16:17]
	ds_read2_b64 v[4:7], v34 offset0:13 offset1:26
	ds_read_b64 v[44:45], v35
	ds_read_b64 v[46:47], v34 offset:312
	s_waitcnt vmcnt(0) lgkmcnt(0)
	s_barrier
	v_mul_f32_e32 v35, v1, v5
	v_mul_f32_e32 v1, v1, v4
	;; [unrolled: 1-line block ×6, first 2 shown]
	v_fma_f32 v4, v0, v4, -v35
	v_fmac_f32_e32 v1, v0, v5
	v_fma_f32 v0, v2, v6, -v48
	v_fmac_f32_e32 v3, v2, v7
	;; [unrolled: 2-line block ×3, first 2 shown]
	v_sub_f32_e32 v0, v44, v0
	v_sub_f32_e32 v2, v4, v2
	;; [unrolled: 1-line block ×4, first 2 shown]
	v_fma_f32 v6, v44, 2.0, -v0
	v_fma_f32 v4, v4, 2.0, -v2
	v_sub_f32_e32 v8, v0, v5
	v_fma_f32 v7, v45, 2.0, -v3
	v_fma_f32 v1, v1, 2.0, -v5
	v_sub_f32_e32 v5, v6, v4
	v_fma_f32 v4, v0, 2.0, -v8
	v_mul_f32_e32 v0, v11, v13
	v_sub_f32_e32 v35, v7, v1
	v_mul_f32_e32 v1, v10, v13
	v_fma_f32 v0, v10, v12, -v0
	v_fmac_f32_e32 v1, v11, v12
	v_mul_f32_e32 v11, v0, v19
	v_add_f32_e32 v9, v3, v2
	v_fma_f32 v2, v6, 2.0, -v5
	v_mul_f32_e32 v6, v17, v15
	v_mul_f32_e32 v10, v1, v19
	v_fmac_f32_e32 v11, v18, v1
	v_fma_f32 v44, v3, 2.0, -v9
	v_fma_f32 v3, v7, 2.0, -v35
	v_mul_f32_e32 v7, v16, v15
	v_fma_f32 v6, v16, v14, -v6
	v_fma_f32 v10, v18, v0, -v10
	v_mul_f32_e32 v1, v2, v11
	v_mul_f32_e32 v0, v3, v11
	v_fmac_f32_e32 v1, v3, v10
	v_fmac_f32_e32 v7, v17, v14
	v_mul_f32_e32 v3, v6, v21
	v_fma_f32 v0, v2, v10, -v0
	v_mul_f32_e32 v2, v7, v21
	v_fmac_f32_e32 v3, v20, v7
	v_fma_f32 v10, v20, v6, -v2
	v_mul_f32_e32 v2, v44, v3
	v_fma_f32 v2, v4, v10, -v2
	v_mul_f32_e32 v3, v4, v3
	v_mul_f32_e32 v4, v23, v27
	v_fma_f32 v4, v22, v26, -v4
	v_mul_f32_e32 v6, v22, v27
	v_fmac_f32_e32 v3, v44, v10
	v_fmac_f32_e32 v6, v23, v26
	v_mul_f32_e32 v10, v4, v37
	v_mul_f32_e32 v7, v6, v37
	v_fmac_f32_e32 v10, v36, v6
	v_fma_f32 v7, v36, v4, -v7
	v_mul_f32_e32 v4, v35, v10
	v_fma_f32 v4, v5, v7, -v4
	v_mul_f32_e32 v5, v5, v10
	v_mul_f32_e32 v6, v39, v41
	v_fmac_f32_e32 v5, v35, v7
	v_fma_f32 v6, v38, v40, -v6
	v_mul_f32_e32 v7, v38, v41
	v_fmac_f32_e32 v7, v39, v40
	v_mul_f32_e32 v11, v6, v43
	v_mul_f32_e32 v10, v7, v43
	v_fmac_f32_e32 v11, v42, v7
	v_fma_f32 v10, v42, v6, -v10
	v_mul_f32_e32 v6, v9, v11
	v_mul_f32_e32 v7, v8, v11
	v_fma_f32 v6, v8, v10, -v6
	v_fmac_f32_e32 v7, v9, v10
	ds_write2_b64 v34, v[0:1], v[2:3] offset1:13
	ds_write2_b64 v34, v[4:5], v[6:7] offset0:26 offset1:39
	s_waitcnt lgkmcnt(0)
	s_barrier
	s_and_saveexec_b64 s[4:5], s[0:1]
	s_cbranch_execz .LBB0_17
; %bb.16:
	v_mad_u64_u32 v[4:5], s[0:1], s10, v31, 0
	v_mad_u64_u32 v[6:7], s[0:1], s8, v33, 0
	v_mov_b32_e32 v0, v5
	v_mad_u64_u32 v[0:1], s[0:1], s11, v31, v[0:1]
	v_mov_b32_e32 v1, v7
	s_mul_i32 s3, s3, s24
	s_mul_hi_u32 s4, s2, s24
	v_mad_u64_u32 v[1:2], s[0:1], s9, v33, v[1:2]
	s_add_i32 s1, s4, s3
	s_mul_i32 s0, s2, s24
	s_lshl_b64 s[0:1], s[0:1], 3
	s_add_u32 s0, s14, s0
	v_lshlrev_b64 v[8:9], 3, v[24:25]
	v_mov_b32_e32 v5, v0
	s_addc_u32 s1, s15, s1
	v_mul_u32_u24_e32 v0, 0x1a0, v31
	v_mov_b32_e32 v11, s1
	v_add_co_u32_e32 v12, vcc, s0, v8
	v_lshlrev_b64 v[4:5], 3, v[4:5]
	v_add3_u32 v10, 0, v0, v32
	v_addc_co_u32_e32 v11, vcc, v11, v9, vcc
	v_mad_u64_u32 v[8:9], s[0:1], s8, v30, 0
	v_mov_b32_e32 v7, v1
	ds_read2_b64 v[0:3], v10 offset1:13
	v_add_co_u32_e32 v12, vcc, v12, v4
	v_addc_co_u32_e32 v11, vcc, v11, v5, vcc
	v_lshlrev_b64 v[4:5], 3, v[6:7]
	v_mov_b32_e32 v6, v9
	v_add_co_u32_e32 v4, vcc, v12, v4
	v_mad_u64_u32 v[6:7], s[0:1], s9, v30, v[6:7]
	v_addc_co_u32_e32 v5, vcc, v11, v5, vcc
	s_waitcnt lgkmcnt(0)
	global_store_dwordx2 v[4:5], v[0:1], off
	v_mad_u64_u32 v[4:5], s[0:1], s8, v29, 0
	v_mov_b32_e32 v9, v6
	v_lshlrev_b64 v[0:1], 3, v[8:9]
	v_mad_u64_u32 v[5:6], s[0:1], s9, v29, v[5:6]
	v_mad_u64_u32 v[6:7], s[0:1], s8, v28, 0
	v_add_co_u32_e32 v0, vcc, v12, v0
	v_addc_co_u32_e32 v1, vcc, v11, v1, vcc
	global_store_dwordx2 v[0:1], v[2:3], off
	ds_read2_b64 v[0:3], v10 offset0:26 offset1:39
	v_lshlrev_b64 v[4:5], 3, v[4:5]
	v_mad_u64_u32 v[7:8], s[0:1], s9, v28, v[7:8]
	v_add_co_u32_e32 v4, vcc, v12, v4
	v_addc_co_u32_e32 v5, vcc, v11, v5, vcc
	s_waitcnt lgkmcnt(0)
	global_store_dwordx2 v[4:5], v[0:1], off
	v_lshlrev_b64 v[0:1], 3, v[6:7]
	v_add_co_u32_e32 v0, vcc, v12, v0
	v_addc_co_u32_e32 v1, vcc, v11, v1, vcc
	global_store_dwordx2 v[0:1], v[2:3], off
.LBB0_17:
	s_endpgm
	.section	.rodata,"a",@progbits
	.p2align	6, 0x0
	.amdhsa_kernel fft_rtc_fwd_len52_factors_13_4_wgs_208_tpt_13_sp_op_CI_CI_sbcc_twdbase8_3step
		.amdhsa_group_segment_fixed_size 0
		.amdhsa_private_segment_fixed_size 0
		.amdhsa_kernarg_size 112
		.amdhsa_user_sgpr_count 6
		.amdhsa_user_sgpr_private_segment_buffer 1
		.amdhsa_user_sgpr_dispatch_ptr 0
		.amdhsa_user_sgpr_queue_ptr 0
		.amdhsa_user_sgpr_kernarg_segment_ptr 1
		.amdhsa_user_sgpr_dispatch_id 0
		.amdhsa_user_sgpr_flat_scratch_init 0
		.amdhsa_user_sgpr_private_segment_size 0
		.amdhsa_uses_dynamic_stack 0
		.amdhsa_system_sgpr_private_segment_wavefront_offset 0
		.amdhsa_system_sgpr_workgroup_id_x 1
		.amdhsa_system_sgpr_workgroup_id_y 0
		.amdhsa_system_sgpr_workgroup_id_z 0
		.amdhsa_system_sgpr_workgroup_info 0
		.amdhsa_system_vgpr_workitem_id 0
		.amdhsa_next_free_vgpr 121
		.amdhsa_next_free_sgpr 53
		.amdhsa_reserve_vcc 1
		.amdhsa_reserve_flat_scratch 0
		.amdhsa_float_round_mode_32 0
		.amdhsa_float_round_mode_16_64 0
		.amdhsa_float_denorm_mode_32 3
		.amdhsa_float_denorm_mode_16_64 3
		.amdhsa_dx10_clamp 1
		.amdhsa_ieee_mode 1
		.amdhsa_fp16_overflow 0
		.amdhsa_exception_fp_ieee_invalid_op 0
		.amdhsa_exception_fp_denorm_src 0
		.amdhsa_exception_fp_ieee_div_zero 0
		.amdhsa_exception_fp_ieee_overflow 0
		.amdhsa_exception_fp_ieee_underflow 0
		.amdhsa_exception_fp_ieee_inexact 0
		.amdhsa_exception_int_div_zero 0
	.end_amdhsa_kernel
	.text
.Lfunc_end0:
	.size	fft_rtc_fwd_len52_factors_13_4_wgs_208_tpt_13_sp_op_CI_CI_sbcc_twdbase8_3step, .Lfunc_end0-fft_rtc_fwd_len52_factors_13_4_wgs_208_tpt_13_sp_op_CI_CI_sbcc_twdbase8_3step
                                        ; -- End function
	.section	.AMDGPU.csdata,"",@progbits
; Kernel info:
; codeLenInByte = 5692
; NumSgprs: 57
; NumVgprs: 121
; ScratchSize: 0
; MemoryBound: 0
; FloatMode: 240
; IeeeMode: 1
; LDSByteSize: 0 bytes/workgroup (compile time only)
; SGPRBlocks: 7
; VGPRBlocks: 30
; NumSGPRsForWavesPerEU: 57
; NumVGPRsForWavesPerEU: 121
; Occupancy: 2
; WaveLimiterHint : 1
; COMPUTE_PGM_RSRC2:SCRATCH_EN: 0
; COMPUTE_PGM_RSRC2:USER_SGPR: 6
; COMPUTE_PGM_RSRC2:TRAP_HANDLER: 0
; COMPUTE_PGM_RSRC2:TGID_X_EN: 1
; COMPUTE_PGM_RSRC2:TGID_Y_EN: 0
; COMPUTE_PGM_RSRC2:TGID_Z_EN: 0
; COMPUTE_PGM_RSRC2:TIDIG_COMP_CNT: 0
	.type	__hip_cuid_5fe9dc0f83798bf1,@object ; @__hip_cuid_5fe9dc0f83798bf1
	.section	.bss,"aw",@nobits
	.globl	__hip_cuid_5fe9dc0f83798bf1
__hip_cuid_5fe9dc0f83798bf1:
	.byte	0                               ; 0x0
	.size	__hip_cuid_5fe9dc0f83798bf1, 1

	.ident	"AMD clang version 19.0.0git (https://github.com/RadeonOpenCompute/llvm-project roc-6.4.0 25133 c7fe45cf4b819c5991fe208aaa96edf142730f1d)"
	.section	".note.GNU-stack","",@progbits
	.addrsig
	.addrsig_sym __hip_cuid_5fe9dc0f83798bf1
	.amdgpu_metadata
---
amdhsa.kernels:
  - .args:
      - .actual_access:  read_only
        .address_space:  global
        .offset:         0
        .size:           8
        .value_kind:     global_buffer
      - .address_space:  global
        .offset:         8
        .size:           8
        .value_kind:     global_buffer
      - .offset:         16
        .size:           8
        .value_kind:     by_value
      - .actual_access:  read_only
        .address_space:  global
        .offset:         24
        .size:           8
        .value_kind:     global_buffer
      - .actual_access:  read_only
        .address_space:  global
        .offset:         32
        .size:           8
        .value_kind:     global_buffer
      - .actual_access:  read_only
        .address_space:  global
        .offset:         40
        .size:           8
        .value_kind:     global_buffer
      - .offset:         48
        .size:           8
        .value_kind:     by_value
      - .actual_access:  read_only
        .address_space:  global
        .offset:         56
        .size:           8
        .value_kind:     global_buffer
      - .actual_access:  read_only
        .address_space:  global
        .offset:         64
        .size:           8
        .value_kind:     global_buffer
      - .offset:         72
        .size:           4
        .value_kind:     by_value
      - .actual_access:  read_only
        .address_space:  global
        .offset:         80
        .size:           8
        .value_kind:     global_buffer
      - .actual_access:  read_only
        .address_space:  global
        .offset:         88
        .size:           8
        .value_kind:     global_buffer
      - .actual_access:  read_only
        .address_space:  global
        .offset:         96
        .size:           8
        .value_kind:     global_buffer
      - .actual_access:  write_only
        .address_space:  global
        .offset:         104
        .size:           8
        .value_kind:     global_buffer
    .group_segment_fixed_size: 0
    .kernarg_segment_align: 8
    .kernarg_segment_size: 112
    .language:       OpenCL C
    .language_version:
      - 2
      - 0
    .max_flat_workgroup_size: 208
    .name:           fft_rtc_fwd_len52_factors_13_4_wgs_208_tpt_13_sp_op_CI_CI_sbcc_twdbase8_3step
    .private_segment_fixed_size: 0
    .sgpr_count:     57
    .sgpr_spill_count: 0
    .symbol:         fft_rtc_fwd_len52_factors_13_4_wgs_208_tpt_13_sp_op_CI_CI_sbcc_twdbase8_3step.kd
    .uniform_work_group_size: 1
    .uses_dynamic_stack: false
    .vgpr_count:     121
    .vgpr_spill_count: 0
    .wavefront_size: 64
amdhsa.target:   amdgcn-amd-amdhsa--gfx906
amdhsa.version:
  - 1
  - 2
...

	.end_amdgpu_metadata
